;; amdgpu-corpus repo=ROCm/rocFFT kind=compiled arch=gfx906 opt=O3
	.text
	.amdgcn_target "amdgcn-amd-amdhsa--gfx906"
	.amdhsa_code_object_version 6
	.protected	bluestein_single_back_len78_dim1_sp_op_CI_CI ; -- Begin function bluestein_single_back_len78_dim1_sp_op_CI_CI
	.globl	bluestein_single_back_len78_dim1_sp_op_CI_CI
	.p2align	8
	.type	bluestein_single_back_len78_dim1_sp_op_CI_CI,@function
bluestein_single_back_len78_dim1_sp_op_CI_CI: ; @bluestein_single_back_len78_dim1_sp_op_CI_CI
; %bb.0:
	v_mul_u32_u24_e32 v1, 0x13b2, v0
	s_load_dwordx4 s[0:3], s[4:5], 0x28
	v_lshrrev_b32_e32 v1, 16, v1
	v_mad_u64_u32 v[50:51], s[6:7], s6, 19, v[1:2]
	v_mov_b32_e32 v51, 0
	s_waitcnt lgkmcnt(0)
	v_cmp_gt_u64_e32 vcc, s[0:1], v[50:51]
	s_and_saveexec_b64 s[0:1], vcc
	s_cbranch_execz .LBB0_10
; %bb.1:
	s_load_dwordx4 s[12:15], s[4:5], 0x18
	s_load_dwordx4 s[8:11], s[4:5], 0x0
	v_mul_lo_u16_e32 v1, 13, v1
	v_sub_u16_e32 v65, v0, v1
	v_lshlrev_b32_e32 v68, 3, v65
	s_waitcnt lgkmcnt(0)
	s_load_dwordx4 s[16:19], s[12:13], 0x0
	v_mov_b32_e32 v14, s9
                                        ; implicit-def: $vgpr38
                                        ; implicit-def: $vgpr40
                                        ; implicit-def: $vgpr63
                                        ; implicit-def: $vgpr44
	s_waitcnt lgkmcnt(0)
	v_mad_u64_u32 v[0:1], s[0:1], s18, v50, 0
	v_mad_u64_u32 v[2:3], s[0:1], s16, v65, 0
	;; [unrolled: 1-line block ×4, first 2 shown]
	v_mov_b32_e32 v1, v4
	v_lshlrev_b64 v[0:1], 3, v[0:1]
	v_mov_b32_e32 v6, s3
	v_mov_b32_e32 v3, v5
	v_add_co_u32_e32 v4, vcc, s2, v0
	v_addc_co_u32_e32 v5, vcc, v6, v1, vcc
	v_lshlrev_b64 v[0:1], 3, v[2:3]
	s_mul_i32 s0, s17, 0x68
	v_add_co_u32_e32 v0, vcc, v4, v0
	s_mul_hi_u32 s1, s16, 0x68
	v_addc_co_u32_e32 v1, vcc, v5, v1, vcc
	s_add_i32 s0, s1, s0
	s_mul_i32 s1, s16, 0x68
	global_load_dwordx2 v[2:3], v[0:1], off
	v_mov_b32_e32 v4, s0
	v_add_co_u32_e32 v0, vcc, s1, v0
	v_addc_co_u32_e32 v1, vcc, v1, v4, vcc
	v_mov_b32_e32 v5, s0
	v_add_co_u32_e32 v4, vcc, s1, v0
	v_addc_co_u32_e32 v5, vcc, v1, v5, vcc
	global_load_dwordx2 v[61:62], v68, s[8:9]
	global_load_dwordx2 v[59:60], v68, s[8:9] offset:104
	global_load_dwordx2 v[6:7], v[0:1], off
	global_load_dwordx2 v[8:9], v[4:5], off
	v_mov_b32_e32 v1, s0
	v_add_co_u32_e32 v0, vcc, s1, v4
	v_addc_co_u32_e32 v1, vcc, v5, v1, vcc
	v_mov_b32_e32 v5, s0
	v_add_co_u32_e32 v4, vcc, s1, v0
	global_load_dwordx2 v[57:58], v68, s[8:9] offset:208
	global_load_dwordx2 v[55:56], v68, s[8:9] offset:312
	v_addc_co_u32_e32 v5, vcc, v1, v5, vcc
	global_load_dwordx2 v[10:11], v[0:1], off
	global_load_dwordx2 v[12:13], v[4:5], off
	global_load_dwordx2 v[53:54], v68, s[8:9] offset:416
	v_mov_b32_e32 v1, s0
	v_add_co_u32_e32 v0, vcc, s1, v4
	v_addc_co_u32_e32 v1, vcc, v5, v1, vcc
	global_load_dwordx2 v[51:52], v68, s[8:9] offset:520
	global_load_dwordx2 v[4:5], v[0:1], off
	s_mov_b32 s0, 0xaf286bcb
	v_mul_hi_u32 v0, v50, s0
	s_load_dwordx2 s[6:7], s[4:5], 0x38
	s_load_dwordx4 s[0:3], s[14:15], 0x0
	v_add_co_u32_e32 v48, vcc, s8, v68
	v_sub_u32_e32 v1, v50, v0
	v_lshrrev_b32_e32 v1, 1, v1
	v_add_u32_e32 v0, v1, v0
	v_lshrrev_b32_e32 v0, 4, v0
	v_mul_lo_u32 v0, v0, 19
	v_addc_co_u32_e32 v49, vcc, 0, v14, vcc
	v_cmp_gt_u16_e32 vcc, 6, v65
	v_sub_u32_e32 v0, v50, v0
	v_mul_u32_u24_e32 v0, 0x4e, v0
	v_lshlrev_b32_e32 v67, 3, v0
	v_add_u32_e32 v66, v68, v67
	s_waitcnt vmcnt(10)
	v_mul_f32_e32 v0, v3, v62
	v_mul_f32_e32 v1, v2, v62
	v_fmac_f32_e32 v0, v2, v61
	v_fma_f32 v1, v3, v61, -v1
	s_waitcnt vmcnt(8)
	v_mul_f32_e32 v2, v7, v60
	v_mul_f32_e32 v3, v6, v60
	v_fmac_f32_e32 v2, v6, v59
	v_fma_f32 v3, v7, v59, -v3
	ds_write2_b64 v66, v[0:1], v[2:3] offset1:13
	s_waitcnt vmcnt(6)
	v_mul_f32_e32 v6, v9, v58
	v_mul_f32_e32 v7, v8, v58
	s_waitcnt vmcnt(4)
	v_mul_f32_e32 v0, v11, v56
	v_mul_f32_e32 v1, v10, v56
	v_fmac_f32_e32 v6, v8, v57
	v_fma_f32 v7, v9, v57, -v7
	v_fmac_f32_e32 v0, v10, v55
	v_fma_f32 v1, v11, v55, -v1
	s_waitcnt vmcnt(2)
	v_mul_f32_e32 v2, v13, v54
	v_mul_f32_e32 v3, v12, v54
	ds_write2_b64 v66, v[6:7], v[0:1] offset0:26 offset1:39
	s_waitcnt vmcnt(0)
	v_mul_f32_e32 v0, v5, v52
	v_mul_f32_e32 v1, v4, v52
	v_fmac_f32_e32 v2, v12, v53
	v_fma_f32 v3, v13, v53, -v3
	v_fmac_f32_e32 v0, v4, v51
	v_fma_f32 v1, v5, v51, -v1
	ds_write2_b64 v66, v[2:3], v[0:1] offset0:52 offset1:65
	s_waitcnt lgkmcnt(0)
	s_barrier
	ds_read2_b64 v[0:3], v66 offset1:13
	ds_read2_b64 v[4:7], v66 offset0:26 offset1:39
	ds_read2_b64 v[8:11], v66 offset0:52 offset1:65
	s_waitcnt lgkmcnt(0)
	s_barrier
	v_add_f32_e32 v12, v0, v4
	v_add_f32_e32 v13, v4, v8
	v_fma_f32 v0, -0.5, v13, v0
	v_sub_f32_e32 v13, v5, v9
	v_mov_b32_e32 v14, v0
	v_fmac_f32_e32 v14, 0x3f5db3d7, v13
	v_fmac_f32_e32 v0, 0xbf5db3d7, v13
	v_add_f32_e32 v13, v1, v5
	v_add_f32_e32 v5, v5, v9
	v_fma_f32 v1, -0.5, v5, v1
	v_add_f32_e32 v12, v12, v8
	v_sub_f32_e32 v4, v4, v8
	v_mov_b32_e32 v5, v1
	v_add_f32_e32 v8, v6, v10
	v_fmac_f32_e32 v5, 0xbf5db3d7, v4
	v_fmac_f32_e32 v1, 0x3f5db3d7, v4
	v_add_f32_e32 v4, v2, v6
	v_fma_f32 v2, -0.5, v8, v2
	v_add_f32_e32 v13, v13, v9
	v_sub_f32_e32 v8, v7, v11
	v_mov_b32_e32 v9, v2
	v_fmac_f32_e32 v9, 0x3f5db3d7, v8
	v_fmac_f32_e32 v2, 0xbf5db3d7, v8
	v_add_f32_e32 v8, v3, v7
	v_add_f32_e32 v7, v7, v11
	v_fmac_f32_e32 v3, -0.5, v7
	v_sub_f32_e32 v6, v6, v10
	v_mov_b32_e32 v7, v3
	v_fmac_f32_e32 v7, 0xbf5db3d7, v6
	v_add_f32_e32 v4, v4, v10
	v_fmac_f32_e32 v3, 0x3f5db3d7, v6
	v_mul_f32_e32 v6, 0x3f5db3d7, v7
	v_mul_f32_e32 v10, -0.5, v2
	v_fmac_f32_e32 v6, 0.5, v9
	v_fmac_f32_e32 v10, 0x3f5db3d7, v3
	v_mul_f32_e32 v9, 0xbf5db3d7, v9
	v_mul_f32_e32 v3, -0.5, v3
	v_add_f32_e32 v8, v8, v11
	v_fmac_f32_e32 v9, 0.5, v7
	v_add_f32_e32 v28, v0, v10
	v_fmac_f32_e32 v3, 0xbf5db3d7, v2
	v_sub_f32_e32 v34, v0, v10
	v_mul_lo_u16_e32 v0, 6, v65
	v_add_f32_e32 v24, v12, v4
	v_add_f32_e32 v26, v14, v6
	v_add_f32_e32 v25, v13, v8
	v_add_f32_e32 v27, v5, v9
	v_add_f32_e32 v29, v1, v3
	v_sub_f32_e32 v30, v12, v4
	v_sub_f32_e32 v32, v14, v6
	;; [unrolled: 1-line block ×5, first 2 shown]
	v_lshl_add_u32 v69, v0, 3, v67
	ds_write_b128 v69, v[24:27]
	ds_write_b128 v69, v[28:31] offset:16
	ds_write_b128 v69, v[32:35] offset:32
	s_waitcnt lgkmcnt(0)
	s_barrier
	s_and_saveexec_b64 s[4:5], vcc
	s_cbranch_execz .LBB0_3
; %bb.2:
	ds_read2_b64 v[24:27], v66 offset1:6
	ds_read2_b64 v[28:31], v66 offset0:12 offset1:18
	ds_read2_b64 v[32:35], v66 offset0:24 offset1:30
	;; [unrolled: 1-line block ×5, first 2 shown]
	ds_read_b64 v[63:64], v66 offset:576
.LBB0_3:
	s_or_b64 exec, exec, s[4:5]
	s_movk_i32 s4, 0xab
	v_mul_lo_u16_sdwa v0, v65, s4 dst_sel:DWORD dst_unused:UNUSED_PAD src0_sel:BYTE_0 src1_sel:DWORD
	v_lshrrev_b16_e32 v0, 10, v0
	v_mul_lo_u16_e32 v0, 6, v0
	v_sub_u16_e32 v0, v65, v0
	v_mul_lo_u16_e32 v0, 12, v0
	v_and_b32_e32 v0, 0xfc, v0
	v_lshlrev_b32_e32 v70, 3, v0
	global_load_dwordx4 v[12:15], v70, s[10:11]
	global_load_dwordx4 v[4:7], v70, s[10:11] offset:16
	global_load_dwordx4 v[0:3], v70, s[10:11] offset:32
	global_load_dwordx4 v[8:11], v70, s[10:11] offset:48
	global_load_dwordx4 v[16:19], v70, s[10:11] offset:64
	global_load_dwordx4 v[20:23], v70, s[10:11] offset:80
	s_mov_b32 s4, 0x3f62ad3f
	s_mov_b32 s5, 0x3f116cb1
	;; [unrolled: 1-line block ×6, first 2 shown]
	s_waitcnt vmcnt(5) lgkmcnt(6)
	v_mul_f32_e32 v93, v27, v13
	v_mul_f32_e32 v84, v26, v13
	s_waitcnt lgkmcnt(5)
	v_mul_f32_e32 v81, v29, v15
	v_mul_f32_e32 v70, v28, v15
	s_waitcnt vmcnt(1) lgkmcnt(2)
	v_mul_f32_e32 v77, v42, v17
	s_waitcnt lgkmcnt(1)
	v_mul_f32_e32 v90, v45, v19
	v_mul_f32_e32 v78, v44, v19
	s_waitcnt vmcnt(0)
	v_mul_f32_e32 v91, v47, v21
	s_waitcnt lgkmcnt(0)
	v_mul_f32_e32 v92, v64, v23
	v_mul_f32_e32 v80, v63, v23
	;; [unrolled: 1-line block ×9, first 2 shown]
	v_fmac_f32_e32 v77, v43, v16
	v_fma_f32 v43, v44, v18, -v90
	v_fmac_f32_e32 v78, v45, v18
	v_fma_f32 v44, v46, v20, -v91
	v_fma_f32 v45, v63, v22, -v92
	v_fmac_f32_e32 v80, v64, v22
	v_fma_f32 v46, v26, v12, -v93
	v_fmac_f32_e32 v84, v27, v12
	v_mul_f32_e32 v71, v30, v5
	v_mul_f32_e32 v85, v35, v1
	;; [unrolled: 1-line block ×4, first 2 shown]
	v_fma_f32 v81, v28, v14, -v81
	v_fmac_f32_e32 v70, v29, v14
	v_fmac_f32_e32 v73, v35, v0
	v_fma_f32 v35, v36, v2, -v86
	v_fmac_f32_e32 v74, v37, v2
	v_fma_f32 v36, v38, v8, -v87
	v_fma_f32 v37, v40, v10, -v88
	v_fmac_f32_e32 v79, v47, v20
	v_sub_f32_e32 v38, v46, v45
	v_sub_f32_e32 v40, v84, v80
	v_mul_f32_e32 v72, v32, v7
	v_fmac_f32_e32 v71, v31, v4
	v_fmac_f32_e32 v75, v39, v8
	;; [unrolled: 1-line block ×3, first 2 shown]
	v_add_f32_e32 v98, v84, v80
	v_sub_f32_e32 v39, v81, v44
	v_sub_f32_e32 v41, v70, v79
	v_mul_f32_e32 v88, 0xbeedf032, v38
	v_mul_f32_e32 v86, 0xbeedf032, v40
	;; [unrolled: 1-line block ×3, first 2 shown]
	v_fmac_f32_e32 v72, v33, v6
	v_fma_f32 v34, v34, v0, -v85
	v_add_f32_e32 v96, v70, v79
	v_add_f32_e32 v99, v46, v45
	v_sub_f32_e32 v156, v71, v78
	v_mul_f32_e32 v87, 0xbf52af12, v39
	v_mul_f32_e32 v85, 0xbf52af12, v41
	v_fma_f32 v26, v98, s4, -v88
	v_mov_b32_e32 v28, v86
	v_mul_f32_e32 v83, v33, v7
	v_fma_f32 v82, v30, v4, -v82
	v_add_f32_e32 v97, v81, v44
	v_mul_f32_e32 v47, 0xbf7e222b, v156
	v_fma_f32 v27, v96, s5, -v87
	v_mov_b32_e32 v29, v85
	v_add_f32_e32 v26, v25, v26
	v_fmac_f32_e32 v28, 0x3f62ad3f, v99
	v_sub_f32_e32 v158, v72, v77
	v_fma_f32 v83, v32, v6, -v83
	v_fma_f32 v42, v42, v16, -v89
	v_add_f32_e32 v94, v82, v43
	v_sub_f32_e32 v157, v82, v43
	v_mov_b32_e32 v30, v47
	v_fmac_f32_e32 v29, 0x3f116cb1, v97
	v_add_f32_e32 v26, v27, v26
	v_add_f32_e32 v27, v24, v28
	v_mul_f32_e32 v90, 0xbf6f5d39, v158
	v_add_f32_e32 v95, v71, v78
	v_mul_f32_e32 v89, 0xbf7e222b, v157
	v_fmac_f32_e32 v30, 0x3df6dbef, v94
	v_add_f32_e32 v27, v29, v27
	v_add_f32_e32 v102, v83, v42
	v_mov_b32_e32 v28, v90
	v_sub_f32_e32 v159, v83, v42
	v_fma_f32 v31, v95, s10, -v89
	v_add_f32_e32 v27, v30, v27
	v_fmac_f32_e32 v28, 0xbeb58ec6, v102
	v_add_f32_e32 v103, v72, v77
	v_mul_f32_e32 v91, 0xbf6f5d39, v159
	v_sub_f32_e32 v160, v73, v76
	v_add_f32_e32 v26, v31, v26
	v_add_f32_e32 v27, v28, v27
	v_fma_f32 v28, v103, s11, -v91
	v_mul_f32_e32 v92, 0xbf29c268, v160
	v_add_f32_e32 v26, v28, v26
	v_add_f32_e32 v113, v34, v37
	v_mov_b32_e32 v28, v92
	v_sub_f32_e32 v161, v34, v37
	v_fmac_f32_e32 v28, 0xbf3f9e67, v113
	v_add_f32_e32 v115, v73, v76
	v_mul_f32_e32 v93, 0xbf29c268, v161
	v_sub_f32_e32 v162, v74, v75
	v_add_f32_e32 v27, v28, v27
	v_fma_f32 v28, v115, s12, -v93
	v_mul_f32_e32 v100, 0xbe750f2a, v162
	v_add_f32_e32 v26, v28, v26
	v_add_f32_e32 v121, v35, v36
	v_mov_b32_e32 v28, v100
	v_sub_f32_e32 v163, v35, v36
	v_fmac_f32_e32 v28, 0xbf788fa5, v121
	v_add_f32_e32 v125, v74, v75
	v_mul_f32_e32 v101, 0xbe750f2a, v163
	v_add_f32_e32 v63, v28, v27
	v_fma_f32 v27, v125, s13, -v101
	v_mul_f32_e32 v104, 0xbf52af12, v40
	v_add_f32_e32 v64, v27, v26
	v_mov_b32_e32 v26, v104
	v_mul_f32_e32 v105, 0xbf6f5d39, v41
	v_fmac_f32_e32 v26, 0x3f116cb1, v99
	v_mov_b32_e32 v27, v105
	v_add_f32_e32 v26, v24, v26
	v_fmac_f32_e32 v27, 0xbeb58ec6, v97
	v_mul_f32_e32 v108, 0xbf52af12, v38
	v_add_f32_e32 v26, v27, v26
	v_fma_f32 v27, v98, s5, -v108
	v_mul_f32_e32 v110, 0xbf6f5d39, v39
	v_add_f32_e32 v27, v25, v27
	v_fma_f32 v28, v96, s11, -v110
	v_mul_f32_e32 v106, 0xbe750f2a, v156
	v_add_f32_e32 v27, v28, v27
	v_mov_b32_e32 v28, v106
	v_fmac_f32_e32 v28, 0xbf788fa5, v94
	v_mul_f32_e32 v112, 0xbe750f2a, v157
	v_add_f32_e32 v26, v28, v26
	v_fma_f32 v28, v95, s13, -v112
	v_mul_f32_e32 v107, 0x3f29c268, v158
	v_add_f32_e32 v27, v28, v27
	v_mov_b32_e32 v28, v107
	v_fmac_f32_e32 v28, 0xbf3f9e67, v102
	;; [unrolled: 7-line block ×4, first 2 shown]
	v_mul_f32_e32 v117, 0x3eedf032, v163
	v_mul_f32_e32 v118, 0xbf7e222b, v40
	v_fma_f32 v29, v125, s4, -v117
	v_add_f32_e32 v28, v28, v26
	v_mov_b32_e32 v26, v118
	v_mul_f32_e32 v119, 0xbe750f2a, v41
	v_add_f32_e32 v29, v29, v27
	v_fmac_f32_e32 v26, 0x3df6dbef, v99
	v_mov_b32_e32 v27, v119
	v_add_f32_e32 v26, v24, v26
	v_fmac_f32_e32 v27, 0xbf788fa5, v97
	v_mul_f32_e32 v120, 0x3f6f5d39, v156
	v_add_f32_e32 v26, v27, v26
	v_mov_b32_e32 v27, v120
	v_fmac_f32_e32 v27, 0xbeb58ec6, v94
	v_mul_f32_e32 v122, 0x3eedf032, v158
	v_add_f32_e32 v26, v27, v26
	v_mov_b32_e32 v27, v122
	v_fmac_f32_e32 v27, 0x3f62ad3f, v102
	v_mul_f32_e32 v123, 0xbf52af12, v160
	v_add_f32_e32 v26, v27, v26
	v_mov_b32_e32 v27, v123
	v_fmac_f32_e32 v27, 0x3f116cb1, v113
	v_mul_f32_e32 v124, 0xbf29c268, v162
	v_add_f32_e32 v26, v27, v26
	v_mov_b32_e32 v27, v124
	v_fmac_f32_e32 v27, 0xbf3f9e67, v121
	v_mul_f32_e32 v126, 0xbf7e222b, v38
	v_add_f32_e32 v26, v27, v26
	v_fma_f32 v27, v98, s10, -v126
	v_mul_f32_e32 v127, 0xbe750f2a, v39
	v_add_f32_e32 v27, v25, v27
	v_fma_f32 v30, v96, s13, -v127
	;; [unrolled: 3-line block ×6, first 2 shown]
	v_mul_f32_e32 v132, 0xbf6f5d39, v40
	v_add_f32_e32 v27, v30, v27
	v_mov_b32_e32 v30, v132
	v_mul_f32_e32 v133, 0x3f29c268, v41
	v_fmac_f32_e32 v30, 0xbeb58ec6, v99
	v_mov_b32_e32 v31, v133
	v_add_f32_e32 v30, v24, v30
	v_fmac_f32_e32 v31, 0xbf3f9e67, v97
	v_mul_f32_e32 v136, 0xbf6f5d39, v38
	v_add_f32_e32 v30, v31, v30
	v_fma_f32 v31, v98, s11, -v136
	v_mul_f32_e32 v138, 0x3f29c268, v39
	v_add_f32_e32 v31, v25, v31
	v_fma_f32 v32, v96, s12, -v138
	v_mul_f32_e32 v134, 0x3eedf032, v156
	v_add_f32_e32 v31, v32, v31
	v_mov_b32_e32 v32, v134
	v_fmac_f32_e32 v32, 0x3f62ad3f, v94
	v_mul_f32_e32 v140, 0x3eedf032, v157
	v_add_f32_e32 v30, v32, v30
	v_fma_f32 v32, v95, s4, -v140
	v_mul_f32_e32 v135, 0xbf7e222b, v158
	v_add_f32_e32 v31, v32, v31
	v_mov_b32_e32 v32, v135
	v_fmac_f32_e32 v32, 0x3df6dbef, v102
	;; [unrolled: 7-line block ×4, first 2 shown]
	v_mul_f32_e32 v143, 0x3f52af12, v163
	v_mul_f32_e32 v144, 0xbf29c268, v40
	v_fma_f32 v33, v125, s5, -v143
	v_add_f32_e32 v32, v32, v30
	v_mov_b32_e32 v30, v144
	v_mul_f32_e32 v145, 0x3f7e222b, v41
	v_add_f32_e32 v33, v33, v31
	v_fmac_f32_e32 v30, 0xbf3f9e67, v99
	v_mov_b32_e32 v31, v145
	v_add_f32_e32 v30, v24, v30
	v_fmac_f32_e32 v31, 0x3df6dbef, v97
	v_mul_f32_e32 v146, 0xbf52af12, v156
	v_add_f32_e32 v30, v31, v30
	v_mov_b32_e32 v31, v146
	v_fmac_f32_e32 v31, 0x3f116cb1, v94
	v_mul_f32_e32 v147, 0x3e750f2a, v158
	v_add_f32_e32 v30, v31, v30
	v_mov_b32_e32 v31, v147
	v_fmac_f32_e32 v31, 0xbf788fa5, v102
	v_mul_f32_e32 v148, 0x3eedf032, v160
	v_add_f32_e32 v30, v31, v30
	v_mov_b32_e32 v31, v148
	v_fmac_f32_e32 v31, 0x3f62ad3f, v113
	v_mul_f32_e32 v149, 0xbf6f5d39, v162
	v_add_f32_e32 v30, v31, v30
	v_mov_b32_e32 v31, v149
	v_fmac_f32_e32 v31, 0xbeb58ec6, v121
	v_mul_f32_e32 v150, 0xbf29c268, v38
	v_add_f32_e32 v30, v31, v30
	v_fma_f32 v31, v98, s12, -v150
	v_mul_f32_e32 v151, 0x3f7e222b, v39
	v_add_f32_e32 v31, v25, v31
	v_fma_f32 v152, v96, s10, -v151
	v_add_f32_e32 v31, v152, v31
	v_mul_f32_e32 v152, 0xbf52af12, v157
	v_fma_f32 v153, v95, s5, -v152
	v_add_f32_e32 v31, v153, v31
	v_mul_f32_e32 v153, 0x3e750f2a, v159
	;; [unrolled: 3-line block ×4, first 2 shown]
	v_fma_f32 v164, v125, s11, -v155
	v_mul_f32_e32 v40, 0xbe750f2a, v40
	v_add_f32_e32 v31, v164, v31
	v_fma_f32 v164, v99, s13, -v40
	v_mul_f32_e32 v41, 0x3eedf032, v41
	v_add_f32_e32 v164, v24, v164
	v_fma_f32 v165, v97, s4, -v41
	v_add_f32_e32 v164, v165, v164
	v_mul_f32_e32 v165, 0xbe750f2a, v38
	v_mov_b32_e32 v38, v165
	v_mul_f32_e32 v166, 0x3eedf032, v39
	v_fmac_f32_e32 v38, 0xbf788fa5, v98
	v_mov_b32_e32 v39, v166
	v_add_f32_e32 v38, v25, v38
	v_fmac_f32_e32 v39, 0x3f62ad3f, v96
	v_mul_f32_e32 v156, 0xbf29c268, v156
	v_add_f32_e32 v38, v39, v38
	v_fma_f32 v39, v94, s12, -v156
	v_mul_f32_e32 v157, 0xbf29c268, v157
	v_add_f32_e32 v39, v39, v164
	v_mov_b32_e32 v164, v157
	v_fmac_f32_e32 v164, 0xbf3f9e67, v95
	v_mul_f32_e32 v158, 0x3f52af12, v158
	v_fmac_f32_e32 v40, 0xbf788fa5, v99
	v_add_f32_e32 v38, v164, v38
	v_fma_f32 v164, v102, s5, -v158
	v_mul_f32_e32 v159, 0x3f52af12, v159
	v_add_f32_e32 v40, v24, v40
	v_fmac_f32_e32 v41, 0x3f62ad3f, v97
	v_add_f32_e32 v39, v164, v39
	v_mov_b32_e32 v164, v159
	v_add_f32_e32 v40, v41, v40
	v_fmac_f32_e32 v156, 0xbf3f9e67, v94
	v_fma_f32 v41, v98, s13, -v165
	v_fmac_f32_e32 v164, 0x3f116cb1, v103
	v_mul_f32_e32 v160, 0xbf6f5d39, v160
	v_add_f32_e32 v40, v156, v40
	v_add_f32_e32 v41, v25, v41
	v_fma_f32 v156, v96, s4, -v166
	v_add_f32_e32 v38, v164, v38
	v_fma_f32 v164, v113, s11, -v160
	v_mul_f32_e32 v161, 0xbf6f5d39, v161
	v_add_f32_e32 v41, v156, v41
	v_fma_f32 v156, v95, s12, -v157
	v_add_f32_e32 v39, v164, v39
	v_mov_b32_e32 v164, v161
	v_mul_f32_e32 v163, 0x3f7e222b, v163
	v_fmac_f32_e32 v158, 0x3f116cb1, v102
	v_add_f32_e32 v41, v156, v41
	v_fma_f32 v156, v103, s5, -v159
	v_fmac_f32_e32 v164, 0xbeb58ec6, v115
	v_mul_f32_e32 v162, 0x3f7e222b, v162
	v_mov_b32_e32 v167, v163
	v_add_f32_e32 v40, v158, v40
	v_fmac_f32_e32 v160, 0xbeb58ec6, v113
	v_add_f32_e32 v41, v156, v41
	v_fma_f32 v156, v115, s11, -v161
	v_add_f32_e32 v164, v164, v38
	v_fmac_f32_e32 v167, 0x3df6dbef, v125
	v_fma_f32 v38, v121, s10, -v162
	v_add_f32_e32 v40, v160, v40
	v_fmac_f32_e32 v162, 0x3df6dbef, v121
	v_add_f32_e32 v41, v156, v41
	v_fma_f32 v156, v125, s10, -v163
	v_add_f32_e32 v38, v38, v39
	v_add_f32_e32 v39, v167, v164
	;; [unrolled: 1-line block ×4, first 2 shown]
	s_and_saveexec_b64 s[4:5], vcc
	s_cbranch_execz .LBB0_5
; %bb.4:
	v_mul_f32_e32 v157, 0x3f62ad3f, v98
	v_mul_f32_e32 v159, 0x3f116cb1, v98
	;; [unrolled: 1-line block ×10, first 2 shown]
	v_add_f32_e32 v98, v150, v98
	v_mul_f32_e32 v173, 0x3df6dbef, v95
	v_mul_f32_e32 v175, 0xbf788fa5, v95
	v_mul_f32_e32 v177, 0xbeb58ec6, v95
	v_mul_f32_e32 v179, 0x3f62ad3f, v95
	v_mul_f32_e32 v95, 0x3f116cb1, v95
	v_add_f32_e32 v98, v25, v98
	v_add_f32_e32 v96, v151, v96
	v_mul_f32_e32 v181, 0xbeb58ec6, v103
	v_mul_f32_e32 v183, 0xbf3f9e67, v103
	v_mul_f32_e32 v185, 0x3f62ad3f, v103
	v_mul_f32_e32 v187, 0x3df6dbef, v103
	v_mul_f32_e32 v103, 0xbf788fa5, v103
	v_add_f32_e32 v96, v96, v98
	;; [unrolled: 7-line block ×6, first 2 shown]
	v_sub_f32_e32 v96, v99, v144
	v_mul_f32_e32 v172, 0x3df6dbef, v94
	v_mul_f32_e32 v174, 0xbf788fa5, v94
	v_mul_f32_e32 v176, 0xbeb58ec6, v94
	v_mul_f32_e32 v178, 0x3f62ad3f, v94
	v_mul_f32_e32 v94, 0x3f116cb1, v94
	v_add_f32_e32 v96, v24, v96
	v_sub_f32_e32 v97, v97, v145
	v_mul_f32_e32 v180, 0xbeb58ec6, v102
	v_mul_f32_e32 v182, 0xbf3f9e67, v102
	v_mul_f32_e32 v184, 0x3f62ad3f, v102
	v_mul_f32_e32 v186, 0x3df6dbef, v102
	v_mul_f32_e32 v102, 0xbf788fa5, v102
	v_add_f32_e32 v96, v97, v96
	v_sub_f32_e32 v94, v94, v146
	v_mul_f32_e32 v188, 0xbf3f9e67, v113
	v_mul_f32_e32 v190, 0x3df6dbef, v113
	v_mul_f32_e32 v192, 0x3f116cb1, v113
	v_mul_f32_e32 v194, 0xbf788fa5, v113
	v_mul_f32_e32 v113, 0x3f62ad3f, v113
	v_add_f32_e32 v94, v94, v96
	v_sub_f32_e32 v96, v102, v147
	v_mul_f32_e32 v196, 0xbf788fa5, v121
	v_mul_f32_e32 v198, 0x3f62ad3f, v121
	v_mul_f32_e32 v200, 0xbf3f9e67, v121
	v_mul_f32_e32 v202, 0x3f116cb1, v121
	v_mul_f32_e32 v121, 0xbeb58ec6, v121
	v_add_f32_e32 v94, v96, v94
	v_sub_f32_e32 v96, v113, v148
	v_add_f32_e32 v94, v96, v94
	v_sub_f32_e32 v96, v121, v149
	v_add_f32_e32 v94, v96, v94
	v_add_f32_e32 v96, v136, v163
	;; [unrolled: 1-line block ×13, first 2 shown]
	v_sub_f32_e32 v96, v162, v132
	v_add_f32_e32 v96, v24, v96
	v_sub_f32_e32 v98, v170, v133
	v_add_f32_e32 v96, v98, v96
	;; [unrolled: 2-line block ×6, first 2 shown]
	v_add_f32_e32 v98, v126, v161
	v_add_f32_e32 v98, v25, v98
	;; [unrolled: 1-line block ×12, first 2 shown]
	v_sub_f32_e32 v98, v160, v118
	v_add_f32_e32 v98, v24, v98
	v_sub_f32_e32 v102, v168, v119
	v_add_f32_e32 v98, v102, v98
	;; [unrolled: 2-line block ×6, first 2 shown]
	v_add_f32_e32 v102, v108, v159
	v_add_f32_e32 v102, v25, v102
	v_add_f32_e32 v103, v110, v167
	v_add_f32_e32 v102, v103, v102
	v_add_f32_e32 v103, v112, v175
	v_add_f32_e32 v102, v103, v102
	v_add_f32_e32 v103, v114, v183
	v_add_f32_e32 v102, v103, v102
	v_add_f32_e32 v103, v116, v191
	v_add_f32_e32 v102, v103, v102
	v_add_f32_e32 v103, v117, v199
	v_add_f32_e32 v103, v103, v102
	v_sub_f32_e32 v102, v158, v104
	v_add_f32_e32 v88, v88, v157
	v_sub_f32_e32 v86, v156, v86
	v_add_f32_e32 v102, v24, v102
	v_add_f32_e32 v88, v25, v88
	;; [unrolled: 1-line block ×17, first 2 shown]
	v_sub_f32_e32 v104, v166, v105
	v_add_f32_e32 v87, v87, v165
	v_sub_f32_e32 v85, v164, v85
	v_add_f32_e32 v25, v25, v76
	v_add_f32_e32 v24, v24, v37
	v_add_f32_e32 v102, v104, v102
	v_sub_f32_e32 v104, v174, v106
	v_add_f32_e32 v87, v87, v88
	v_add_f32_e32 v88, v89, v173
	;; [unrolled: 4-line block ×9, first 2 shown]
	v_add_f32_e32 v102, v104, v102
	v_add_f32_e32 v87, v88, v87
	;; [unrolled: 1-line block ×3, first 2 shown]
	ds_write_b64 v66, v[24:25]
	v_lshl_add_u32 v24, v65, 3, v67
	ds_write2_b64 v24, v[86:87], v[102:103] offset0:6 offset1:12
	ds_write2_b64 v24, v[98:99], v[96:97] offset0:18 offset1:24
	ds_write2_b64 v24, v[94:95], v[38:39] offset0:30 offset1:36
	ds_write2_b64 v24, v[40:41], v[30:31] offset0:42 offset1:48
	ds_write2_b64 v24, v[32:33], v[26:27] offset0:54 offset1:60
	ds_write2_b64 v24, v[28:29], v[63:64] offset0:66 offset1:72
.LBB0_5:
	s_or_b64 exec, exec, s[4:5]
	s_waitcnt lgkmcnt(0)
	s_barrier
	global_load_dwordx2 v[24:25], v[48:49], off offset:624
	s_add_u32 s4, s8, 0x270
	s_addc_u32 s5, s9, 0
	global_load_dwordx2 v[42:43], v68, s[4:5] offset:104
	global_load_dwordx2 v[46:47], v68, s[4:5] offset:208
	;; [unrolled: 1-line block ×5, first 2 shown]
	ds_read2_b64 v[34:37], v66 offset1:13
	s_waitcnt vmcnt(5) lgkmcnt(0)
	v_mul_f32_e32 v44, v35, v25
	v_mul_f32_e32 v45, v34, v25
	v_fma_f32 v44, v34, v24, -v44
	v_fmac_f32_e32 v45, v35, v24
	s_waitcnt vmcnt(4)
	v_mul_f32_e32 v24, v37, v43
	v_mul_f32_e32 v25, v36, v43
	v_fma_f32 v24, v36, v42, -v24
	v_fmac_f32_e32 v25, v37, v42
	ds_write2_b64 v66, v[44:45], v[24:25] offset1:13
	ds_read2_b64 v[34:37], v66 offset0:26 offset1:39
	ds_read2_b64 v[42:45], v66 offset0:52 offset1:65
	s_waitcnt vmcnt(3) lgkmcnt(1)
	v_mul_f32_e32 v24, v35, v47
	v_mul_f32_e32 v25, v34, v47
	s_waitcnt vmcnt(2)
	v_mul_f32_e32 v68, v37, v49
	v_mul_f32_e32 v47, v36, v49
	s_waitcnt vmcnt(1) lgkmcnt(0)
	v_mul_f32_e32 v74, v43, v71
	v_mul_f32_e32 v49, v42, v71
	s_waitcnt vmcnt(0)
	v_mul_f32_e32 v75, v45, v73
	v_mul_f32_e32 v71, v44, v73
	v_fma_f32 v24, v34, v46, -v24
	v_fmac_f32_e32 v25, v35, v46
	v_fma_f32 v46, v36, v48, -v68
	v_fmac_f32_e32 v47, v37, v48
	;; [unrolled: 2-line block ×4, first 2 shown]
	ds_write2_b64 v66, v[24:25], v[46:47] offset0:26 offset1:39
	ds_write2_b64 v66, v[48:49], v[70:71] offset0:52 offset1:65
	s_waitcnt lgkmcnt(0)
	s_barrier
	ds_read2_b64 v[34:37], v66 offset1:13
	ds_read2_b64 v[42:45], v66 offset0:26 offset1:39
	ds_read2_b64 v[46:49], v66 offset0:52 offset1:65
	s_waitcnt lgkmcnt(0)
	s_barrier
	v_add_f32_e32 v74, v37, v45
	v_sub_f32_e32 v73, v45, v49
	v_add_f32_e32 v45, v45, v49
	v_add_f32_e32 v25, v42, v46
	v_sub_f32_e32 v68, v43, v47
	v_add_f32_e32 v70, v35, v43
	v_add_f32_e32 v43, v43, v47
	;; [unrolled: 1-line block ×3, first 2 shown]
	v_fmac_f32_e32 v37, -0.5, v45
	v_add_f32_e32 v24, v34, v42
	v_add_f32_e32 v71, v36, v44
	v_sub_f32_e32 v44, v44, v48
	v_fma_f32 v25, -0.5, v25, v34
	v_fma_f32 v43, -0.5, v43, v35
	;; [unrolled: 1-line block ×3, first 2 shown]
	v_mov_b32_e32 v72, v37
	v_sub_f32_e32 v42, v42, v46
	v_add_f32_e32 v24, v24, v46
	v_add_f32_e32 v46, v70, v47
	v_add_f32_e32 v47, v71, v48
	v_mov_b32_e32 v70, v25
	v_mov_b32_e32 v71, v43
	;; [unrolled: 1-line block ×3, first 2 shown]
	v_fmac_f32_e32 v37, 0xbf5db3d7, v44
	v_fmac_f32_e32 v72, 0x3f5db3d7, v44
	;; [unrolled: 1-line block ×5, first 2 shown]
	v_add_f32_e32 v34, v24, v47
	v_sub_f32_e32 v48, v24, v47
	v_fmac_f32_e32 v70, 0xbf5db3d7, v68
	v_fmac_f32_e32 v71, 0x3f5db3d7, v42
	;; [unrolled: 1-line block ×3, first 2 shown]
	v_mul_f32_e32 v24, 0xbf5db3d7, v37
	v_mul_f32_e32 v37, -0.5, v37
	v_mul_f32_e32 v42, 0xbf5db3d7, v72
	v_mul_f32_e32 v68, 0.5, v72
	v_add_f32_e32 v49, v74, v49
	v_fmac_f32_e32 v24, -0.5, v36
	v_fmac_f32_e32 v37, 0x3f5db3d7, v36
	v_fmac_f32_e32 v42, 0.5, v45
	v_fmac_f32_e32 v68, 0x3f5db3d7, v45
	v_add_f32_e32 v35, v46, v49
	v_sub_f32_e32 v49, v46, v49
	v_add_f32_e32 v46, v25, v24
	v_add_f32_e32 v47, v43, v37
	v_sub_f32_e32 v44, v25, v24
	v_sub_f32_e32 v45, v43, v37
	v_add_f32_e32 v36, v70, v42
	v_add_f32_e32 v37, v71, v68
	v_sub_f32_e32 v42, v70, v42
	v_sub_f32_e32 v43, v71, v68
	ds_write_b128 v69, v[46:49] offset:16
	ds_write_b128 v69, v[34:37]
	ds_write_b128 v69, v[42:45] offset:32
	s_waitcnt lgkmcnt(0)
	s_barrier
	s_and_saveexec_b64 s[4:5], vcc
	s_cbranch_execz .LBB0_7
; %bb.6:
	ds_read2_b64 v[34:37], v66 offset1:6
	ds_read2_b64 v[46:49], v66 offset0:12 offset1:18
	ds_read2_b64 v[42:45], v66 offset0:24 offset1:30
	;; [unrolled: 1-line block ×5, first 2 shown]
	ds_read_b64 v[63:64], v66 offset:576
.LBB0_7:
	s_or_b64 exec, exec, s[4:5]
	s_and_saveexec_b64 s[4:5], vcc
	s_cbranch_execz .LBB0_9
; %bb.8:
	s_waitcnt lgkmcnt(0)
	v_mul_f32_e32 v24, v23, v63
	v_mul_f32_e32 v25, v13, v36
	v_fma_f32 v24, v22, v64, -v24
	v_fma_f32 v25, v12, v37, -v25
	v_add_f32_e32 v68, v24, v25
	v_mul_f32_e32 v37, v13, v37
	v_mul_f32_e32 v23, v23, v64
	;; [unrolled: 1-line block ×3, first 2 shown]
	v_fmac_f32_e32 v37, v12, v36
	v_fmac_f32_e32 v23, v22, v63
	v_sub_f32_e32 v12, v37, v23
	v_mov_b32_e32 v13, v69
	v_fmac_f32_e32 v13, 0x3e750f2a, v12
	v_add_f32_e32 v22, v35, v13
	v_mul_f32_e32 v13, v21, v28
	v_fma_f32 v36, v20, v29, -v13
	v_mul_f32_e32 v13, v15, v46
	v_fma_f32 v63, v14, v47, -v13
	v_mul_f32_e32 v47, v15, v47
	v_add_f32_e32 v64, v36, v63
	v_fmac_f32_e32 v47, v14, v46
	v_mul_f32_e32 v14, v21, v29
	v_mul_f32_e32 v70, 0x3f62ad3f, v64
	v_fmac_f32_e32 v14, v20, v28
	v_sub_f32_e32 v13, v47, v14
	v_mov_b32_e32 v15, v70
	v_mul_f32_e32 v20, v19, v26
	v_mul_f32_e32 v21, v5, v48
	v_fmac_f32_e32 v15, 0xbeedf032, v13
	v_fma_f32 v20, v18, v27, -v20
	v_fma_f32 v21, v4, v49, -v21
	v_add_f32_e32 v15, v15, v22
	v_add_f32_e32 v22, v20, v21
	v_mul_f32_e32 v29, v5, v49
	v_mul_f32_e32 v19, v19, v27
	;; [unrolled: 1-line block ×3, first 2 shown]
	v_fmac_f32_e32 v29, v4, v48
	v_fmac_f32_e32 v19, v18, v26
	v_sub_f32_e32 v26, v29, v19
	v_mov_b32_e32 v4, v28
	v_fmac_f32_e32 v4, 0x3f29c268, v26
	v_mul_f32_e32 v5, v17, v32
	v_add_f32_e32 v4, v4, v15
	v_fma_f32 v15, v16, v33, -v5
	v_mul_f32_e32 v5, v7, v42
	v_fma_f32 v18, v6, v43, -v5
	v_add_f32_e32 v27, v15, v18
	v_mul_f32_e32 v43, v7, v43
	v_mul_f32_e32 v17, v17, v33
	v_mul_f32_e32 v46, 0x3f116cb1, v27
	v_fmac_f32_e32 v43, v6, v42
	v_fmac_f32_e32 v17, v16, v32
	v_sub_f32_e32 v32, v43, v17
	v_mov_b32_e32 v5, v46
	v_fmac_f32_e32 v5, 0xbf52af12, v32
	v_add_f32_e32 v4, v5, v4
	v_mul_f32_e32 v5, v11, v30
	v_fma_f32 v16, v10, v31, -v5
	v_mul_f32_e32 v5, v1, v44
	v_fma_f32 v33, v0, v45, -v5
	v_mul_f32_e32 v45, v1, v45
	v_mul_f32_e32 v1, v9, v40
	v_fmac_f32_e32 v45, v0, v44
	v_fma_f32 v44, v8, v41, -v1
	v_mul_f32_e32 v1, v3, v38
	v_add_f32_e32 v42, v16, v33
	v_mul_f32_e32 v31, v11, v31
	v_fma_f32 v49, v2, v39, -v1
	v_mul_f32_e32 v39, v3, v39
	v_mul_f32_e32 v48, 0xbeb58ec6, v42
	v_fmac_f32_e32 v31, v10, v30
	v_add_f32_e32 v10, v44, v49
	v_fmac_f32_e32 v39, v2, v38
	v_mul_f32_e32 v38, v9, v41
	v_sub_f32_e32 v30, v45, v31
	v_mov_b32_e32 v0, v48
	v_mul_f32_e32 v71, 0x3df6dbef, v10
	v_fmac_f32_e32 v38, v8, v40
	v_fmac_f32_e32 v0, 0x3f6f5d39, v30
	v_sub_f32_e32 v40, v39, v38
	v_mov_b32_e32 v1, v71
	v_sub_f32_e32 v72, v25, v24
	v_add_f32_e32 v0, v0, v4
	v_fmac_f32_e32 v1, 0xbf7e222b, v40
	v_mul_f32_e32 v73, 0xbe750f2a, v72
	v_sub_f32_e32 v75, v63, v36
	v_add_f32_e32 v1, v1, v0
	v_add_f32_e32 v41, v23, v37
	v_mov_b32_e32 v0, v73
	v_mul_f32_e32 v76, 0x3eedf032, v75
	v_fmac_f32_e32 v0, 0xbf788fa5, v41
	v_add_f32_e32 v74, v14, v47
	v_mov_b32_e32 v2, v76
	v_sub_f32_e32 v78, v21, v20
	v_add_f32_e32 v0, v34, v0
	v_fmac_f32_e32 v2, 0x3f62ad3f, v74
	v_mul_f32_e32 v79, 0xbf29c268, v78
	v_add_f32_e32 v0, v2, v0
	v_add_f32_e32 v77, v19, v29
	v_mov_b32_e32 v2, v79
	v_sub_f32_e32 v81, v18, v15
	v_fmac_f32_e32 v2, 0xbf3f9e67, v77
	v_mul_f32_e32 v82, 0x3f52af12, v81
	v_add_f32_e32 v0, v2, v0
	v_add_f32_e32 v80, v17, v43
	v_mov_b32_e32 v2, v82
	v_sub_f32_e32 v84, v33, v16
	;; [unrolled: 6-line block ×3, first 2 shown]
	v_fmac_f32_e32 v2, 0xbeb58ec6, v83
	v_mul_f32_e32 v88, 0x3f7e222b, v87
	v_add_f32_e32 v0, v2, v0
	v_add_f32_e32 v86, v38, v39
	v_mov_b32_e32 v2, v88
	v_fmac_f32_e32 v2, 0x3df6dbef, v86
	v_mul_f32_e32 v89, 0xbf3f9e67, v68
	v_add_f32_e32 v0, v2, v0
	v_mov_b32_e32 v2, v89
	v_mul_f32_e32 v90, 0x3df6dbef, v64
	v_fmac_f32_e32 v2, 0x3f29c268, v12
	v_mov_b32_e32 v3, v90
	v_add_f32_e32 v2, v35, v2
	v_fmac_f32_e32 v3, 0xbf7e222b, v13
	v_mul_f32_e32 v91, 0x3f116cb1, v22
	v_add_f32_e32 v2, v3, v2
	v_mov_b32_e32 v3, v91
	v_fmac_f32_e32 v3, 0x3f52af12, v26
	v_mul_f32_e32 v92, 0xbf788fa5, v27
	v_add_f32_e32 v2, v3, v2
	v_mov_b32_e32 v3, v92
	v_fmac_f32_e32 v3, 0xbe750f2a, v32
	v_mul_f32_e32 v93, 0x3f62ad3f, v42
	v_add_f32_e32 v2, v3, v2
	v_mov_b32_e32 v3, v93
	v_fmac_f32_e32 v3, 0xbeedf032, v30
	v_mul_f32_e32 v94, 0xbeb58ec6, v10
	v_add_f32_e32 v2, v3, v2
	v_mov_b32_e32 v3, v94
	v_fmac_f32_e32 v3, 0x3f6f5d39, v40
	v_mul_f32_e32 v95, 0xbf29c268, v72
	v_add_f32_e32 v3, v3, v2
	v_mov_b32_e32 v2, v95
	v_mul_f32_e32 v96, 0x3f7e222b, v75
	v_fmac_f32_e32 v2, 0xbf3f9e67, v41
	v_mov_b32_e32 v4, v96
	v_add_f32_e32 v2, v34, v2
	v_fmac_f32_e32 v4, 0x3df6dbef, v74
	v_mul_f32_e32 v97, 0xbf52af12, v78
	v_add_f32_e32 v2, v4, v2
	v_mov_b32_e32 v4, v97
	v_fmac_f32_e32 v4, 0x3f116cb1, v77
	v_mul_f32_e32 v98, 0x3e750f2a, v81
	v_add_f32_e32 v2, v4, v2
	v_mov_b32_e32 v4, v98
	v_fmac_f32_e32 v4, 0xbf788fa5, v80
	v_mul_f32_e32 v99, 0x3eedf032, v84
	v_add_f32_e32 v2, v4, v2
	v_mov_b32_e32 v4, v99
	v_fmac_f32_e32 v4, 0x3f62ad3f, v83
	v_mul_f32_e32 v100, 0xbf6f5d39, v87
	;; [unrolled: 24-line block ×8, first 2 shown]
	v_add_f32_e32 v8, v11, v8
	v_mov_b32_e32 v11, v136
	v_fmac_f32_e32 v11, 0x3f62ad3f, v86
	v_mul_f32_e32 v68, 0x3f62ad3f, v68
	v_add_f32_e32 v8, v11, v8
	v_mov_b32_e32 v11, v68
	v_mul_f32_e32 v64, 0x3f116cb1, v64
	v_fmac_f32_e32 v11, 0x3eedf032, v12
	v_mov_b32_e32 v137, v64
	v_add_f32_e32 v11, v35, v11
	v_fmac_f32_e32 v137, 0x3f52af12, v13
	v_add_f32_e32 v11, v137, v11
	v_mul_f32_e32 v137, 0x3df6dbef, v22
	v_mov_b32_e32 v22, v137
	v_fmac_f32_e32 v22, 0x3f7e222b, v26
	v_mul_f32_e32 v27, 0xbeb58ec6, v27
	v_add_f32_e32 v11, v22, v11
	v_mov_b32_e32 v22, v27
	v_fmac_f32_e32 v22, 0x3f6f5d39, v32
	v_mul_f32_e32 v42, 0xbf3f9e67, v42
	v_add_f32_e32 v11, v22, v11
	v_mov_b32_e32 v22, v42
	v_mul_f32_e32 v138, 0xbf788fa5, v10
	v_fmac_f32_e32 v22, 0x3f29c268, v30
	v_mov_b32_e32 v10, v138
	v_add_f32_e32 v11, v22, v11
	v_fmac_f32_e32 v10, 0x3e750f2a, v40
	v_mul_f32_e32 v72, 0xbeedf032, v72
	v_add_f32_e32 v11, v10, v11
	v_mov_b32_e32 v10, v72
	v_mul_f32_e32 v75, 0xbf52af12, v75
	v_fmac_f32_e32 v10, 0x3f62ad3f, v41
	v_mov_b32_e32 v22, v75
	v_add_f32_e32 v10, v34, v10
	v_fmac_f32_e32 v22, 0x3f116cb1, v74
	v_mul_f32_e32 v78, 0xbf7e222b, v78
	v_add_f32_e32 v10, v22, v10
	v_mov_b32_e32 v22, v78
	v_fmac_f32_e32 v22, 0x3df6dbef, v77
	v_mul_f32_e32 v81, 0xbf6f5d39, v81
	v_add_f32_e32 v10, v22, v10
	v_mov_b32_e32 v22, v81
	v_fmac_f32_e32 v22, 0xbeb58ec6, v80
	v_mul_f32_e32 v84, 0xbf29c268, v84
	v_add_f32_e32 v10, v22, v10
	v_mov_b32_e32 v22, v84
	v_fmac_f32_e32 v22, 0xbf3f9e67, v83
	v_mul_f32_e32 v87, 0xbe750f2a, v87
	v_add_f32_e32 v10, v22, v10
	v_mov_b32_e32 v22, v87
	v_fmac_f32_e32 v22, 0xbf788fa5, v86
	v_add_f32_e32 v10, v22, v10
	v_add_f32_e32 v22, v25, v35
	;; [unrolled: 1-line block ×20, first 2 shown]
	v_fmac_f32_e32 v69, 0xbe750f2a, v12
	v_add_f32_e32 v14, v14, v16
	v_add_f32_e32 v16, v35, v69
	v_fmac_f32_e32 v70, 0x3eedf032, v13
	v_add_f32_e32 v16, v70, v16
	v_fmac_f32_e32 v28, 0xbf29c268, v26
	;; [unrolled: 2-line block ×4, first 2 shown]
	s_mov_b32 s8, 0xbf788fa5
	v_add_f32_e32 v16, v48, v16
	v_fmac_f32_e32 v71, 0x3f7e222b, v40
	s_mov_b32 s9, 0x3f62ad3f
	v_add_f32_e32 v17, v71, v16
	v_fma_f32 v16, v41, s8, -v73
	s_mov_b32 s10, 0xbf3f9e67
	v_add_f32_e32 v16, v34, v16
	v_fma_f32 v18, v74, s9, -v76
	;; [unrolled: 3-line block ×5, first 2 shown]
	v_add_f32_e32 v16, v18, v16
	v_fma_f32 v18, v86, s13, -v88
	v_fmac_f32_e32 v89, 0xbf29c268, v12
	v_add_f32_e32 v16, v18, v16
	v_add_f32_e32 v18, v35, v89
	v_fmac_f32_e32 v90, 0x3f7e222b, v13
	v_add_f32_e32 v18, v90, v18
	v_fmac_f32_e32 v91, 0xbf52af12, v26
	;; [unrolled: 2-line block ×5, first 2 shown]
	v_add_f32_e32 v19, v94, v18
	v_fma_f32 v18, v41, s10, -v95
	v_add_f32_e32 v15, v20, v15
	v_add_f32_e32 v18, v34, v18
	v_fma_f32 v20, v74, s13, -v96
	v_add_f32_e32 v18, v20, v18
	v_fma_f32 v20, v77, s11, -v97
	;; [unrolled: 2-line block ×5, first 2 shown]
	v_fmac_f32_e32 v101, 0xbf6f5d39, v12
	v_add_f32_e32 v18, v20, v18
	v_add_f32_e32 v20, v35, v101
	v_fmac_f32_e32 v102, 0x3f29c268, v13
	v_add_f32_e32 v20, v102, v20
	v_fmac_f32_e32 v103, 0x3eedf032, v26
	;; [unrolled: 2-line block ×5, first 2 shown]
	v_add_f32_e32 v21, v106, v20
	v_fma_f32 v20, v41, s12, -v107
	v_add_f32_e32 v20, v34, v20
	v_fma_f32 v22, v74, s10, -v108
	;; [unrolled: 2-line block ×6, first 2 shown]
	v_fmac_f32_e32 v113, 0xbf7e222b, v12
	v_add_f32_e32 v20, v22, v20
	v_add_f32_e32 v22, v35, v113
	v_fmac_f32_e32 v114, 0xbe750f2a, v13
	v_add_f32_e32 v22, v114, v22
	v_fmac_f32_e32 v115, 0x3f6f5d39, v26
	;; [unrolled: 2-line block ×5, first 2 shown]
	v_add_f32_e32 v15, v36, v15
	v_add_f32_e32 v14, v23, v14
	v_add_f32_e32 v23, v118, v22
	v_fma_f32 v22, v41, s13, -v119
	v_add_f32_e32 v15, v24, v15
	v_add_f32_e32 v22, v34, v22
	v_fma_f32 v24, v74, s8, -v120
	v_add_f32_e32 v22, v24, v22
	v_fma_f32 v24, v77, s12, -v121
	;; [unrolled: 2-line block ×5, first 2 shown]
	v_fmac_f32_e32 v125, 0xbf52af12, v12
	v_fmac_f32_e32 v68, 0xbeedf032, v12
	v_add_f32_e32 v22, v24, v22
	v_add_f32_e32 v24, v35, v125
	v_fmac_f32_e32 v126, 0xbf6f5d39, v13
	v_add_f32_e32 v12, v35, v68
	v_fmac_f32_e32 v64, 0xbf52af12, v13
	;; [unrolled: 2-line block ×10, first 2 shown]
	v_add_f32_e32 v25, v130, v24
	v_fma_f32 v24, v41, s11, -v131
	v_add_f32_e32 v13, v138, v12
	v_fma_f32 v12, v41, s9, -v72
	;; [unrolled: 2-line block ×12, first 2 shown]
	ds_write_b64 v66, v[14:15]
	v_lshl_add_u32 v14, v65, 3, v67
	v_add_f32_e32 v24, v28, v24
	v_add_f32_e32 v12, v26, v12
	ds_write2_b64 v14, v[10:11], v[8:9] offset0:6 offset1:12
	ds_write2_b64 v14, v[6:7], v[4:5] offset0:18 offset1:24
	;; [unrolled: 1-line block ×6, first 2 shown]
.LBB0_9:
	s_or_b64 exec, exec, s[4:5]
	s_waitcnt lgkmcnt(0)
	s_barrier
	ds_read2_b64 v[0:3], v66 offset1:13
	v_mad_u64_u32 v[4:5], s[4:5], s2, v50, 0
	s_mov_b32 s4, 0x1a41a41a
	s_mov_b32 s5, 0x3f8a41a4
	s_waitcnt lgkmcnt(0)
	v_mul_f32_e32 v6, v62, v1
	v_fmac_f32_e32 v6, v61, v0
	v_cvt_f64_f32_e32 v[6:7], v6
	v_mul_f32_e32 v0, v62, v0
	v_fma_f32 v0, v61, v1, -v0
	v_cvt_f64_f32_e32 v[0:1], v0
	v_mul_f64 v[6:7], v[6:7], s[4:5]
	v_mad_u64_u32 v[8:9], s[8:9], s0, v65, 0
	v_mul_f64 v[0:1], v[0:1], s[4:5]
	v_mad_u64_u32 v[10:11], s[2:3], s3, v50, v[5:6]
	v_mov_b32_e32 v5, v9
	v_mad_u64_u32 v[11:12], s[2:3], s1, v65, v[5:6]
	v_mov_b32_e32 v5, v10
	v_cvt_f32_f64_e32 v6, v[6:7]
	v_cvt_f32_f64_e32 v7, v[0:1]
	v_lshlrev_b64 v[0:1], 3, v[4:5]
	v_mul_f32_e32 v4, v60, v3
	v_fmac_f32_e32 v4, v59, v2
	v_mul_f32_e32 v2, v60, v2
	v_fma_f32 v2, v59, v3, -v2
	v_mov_b32_e32 v9, v11
	v_mov_b32_e32 v10, s7
	v_cvt_f64_f32_e32 v[2:3], v2
	v_add_co_u32_e32 v11, vcc, s6, v0
	v_addc_co_u32_e32 v12, vcc, v10, v1, vcc
	v_lshlrev_b64 v[0:1], 3, v[8:9]
	v_mul_f64 v[8:9], v[2:3], s[4:5]
	v_add_co_u32_e32 v10, vcc, v11, v0
	v_addc_co_u32_e32 v11, vcc, v12, v1, vcc
	ds_read2_b64 v[0:3], v66 offset0:26 offset1:39
	v_cvt_f64_f32_e32 v[4:5], v4
	global_store_dwordx2 v[10:11], v[6:7], off
	s_mulk_i32 s1, 0x68
	s_mul_hi_u32 s2, s0, 0x68
	v_mul_f64 v[4:5], v[4:5], s[4:5]
	s_waitcnt lgkmcnt(0)
	v_mul_f32_e32 v6, v58, v1
	v_fmac_f32_e32 v6, v57, v0
	v_cvt_f64_f32_e32 v[6:7], v6
	v_mul_f32_e32 v0, v58, v0
	v_fma_f32 v0, v57, v1, -v0
	v_cvt_f64_f32_e32 v[0:1], v0
	v_mul_f64 v[6:7], v[6:7], s[4:5]
	v_cvt_f32_f64_e32 v4, v[4:5]
	v_cvt_f32_f64_e32 v5, v[8:9]
	s_add_i32 s1, s2, s1
	s_mulk_i32 s0, 0x68
	v_mov_b32_e32 v9, s1
	v_add_co_u32_e32 v8, vcc, s0, v10
	v_addc_co_u32_e32 v9, vcc, v11, v9, vcc
	global_store_dwordx2 v[8:9], v[4:5], off
	v_mul_f64 v[0:1], v[0:1], s[4:5]
	v_mul_f32_e32 v5, v56, v3
	v_fmac_f32_e32 v5, v55, v2
	v_cvt_f32_f64_e32 v4, v[6:7]
	v_cvt_f64_f32_e32 v[6:7], v5
	v_mul_f32_e32 v2, v56, v2
	v_fma_f32 v2, v55, v3, -v2
	v_cvt_f64_f32_e32 v[2:3], v2
	v_mul_f64 v[6:7], v[6:7], s[4:5]
	v_cvt_f32_f64_e32 v5, v[0:1]
	v_mov_b32_e32 v0, s1
	v_add_co_u32_e32 v8, vcc, s0, v8
	v_mul_f64 v[10:11], v[2:3], s[4:5]
	v_addc_co_u32_e32 v9, vcc, v9, v0, vcc
	ds_read2_b64 v[0:3], v66 offset0:52 offset1:65
	global_store_dwordx2 v[8:9], v[4:5], off
	v_cvt_f32_f64_e32 v4, v[6:7]
	v_add_co_u32_e32 v8, vcc, s0, v8
	s_waitcnt lgkmcnt(0)
	v_mul_f32_e32 v6, v54, v1
	v_fmac_f32_e32 v6, v53, v0
	v_mul_f32_e32 v0, v54, v0
	v_fma_f32 v0, v53, v1, -v0
	v_cvt_f32_f64_e32 v5, v[10:11]
	v_cvt_f64_f32_e32 v[6:7], v6
	v_cvt_f64_f32_e32 v[0:1], v0
	v_mov_b32_e32 v10, s1
	v_addc_co_u32_e32 v9, vcc, v9, v10, vcc
	global_store_dwordx2 v[8:9], v[4:5], off
	v_mul_f64 v[4:5], v[6:7], s[4:5]
	v_mul_f64 v[0:1], v[0:1], s[4:5]
	v_mul_f32_e32 v6, v52, v3
	v_fmac_f32_e32 v6, v51, v2
	v_mul_f32_e32 v2, v52, v2
	v_fma_f32 v2, v51, v3, -v2
	v_cvt_f64_f32_e32 v[6:7], v6
	v_cvt_f64_f32_e32 v[2:3], v2
	v_cvt_f32_f64_e32 v4, v[4:5]
	v_cvt_f32_f64_e32 v5, v[0:1]
	v_mul_f64 v[0:1], v[6:7], s[4:5]
	v_mul_f64 v[2:3], v[2:3], s[4:5]
	v_mov_b32_e32 v7, s1
	v_add_co_u32_e32 v6, vcc, s0, v8
	v_addc_co_u32_e32 v7, vcc, v9, v7, vcc
	global_store_dwordx2 v[6:7], v[4:5], off
	v_cvt_f32_f64_e32 v0, v[0:1]
	v_cvt_f32_f64_e32 v1, v[2:3]
	v_mov_b32_e32 v3, s1
	v_add_co_u32_e32 v2, vcc, s0, v6
	v_addc_co_u32_e32 v3, vcc, v7, v3, vcc
	global_store_dwordx2 v[2:3], v[0:1], off
.LBB0_10:
	s_endpgm
	.section	.rodata,"a",@progbits
	.p2align	6, 0x0
	.amdhsa_kernel bluestein_single_back_len78_dim1_sp_op_CI_CI
		.amdhsa_group_segment_fixed_size 11856
		.amdhsa_private_segment_fixed_size 0
		.amdhsa_kernarg_size 104
		.amdhsa_user_sgpr_count 6
		.amdhsa_user_sgpr_private_segment_buffer 1
		.amdhsa_user_sgpr_dispatch_ptr 0
		.amdhsa_user_sgpr_queue_ptr 0
		.amdhsa_user_sgpr_kernarg_segment_ptr 1
		.amdhsa_user_sgpr_dispatch_id 0
		.amdhsa_user_sgpr_flat_scratch_init 0
		.amdhsa_user_sgpr_private_segment_size 0
		.amdhsa_uses_dynamic_stack 0
		.amdhsa_system_sgpr_private_segment_wavefront_offset 0
		.amdhsa_system_sgpr_workgroup_id_x 1
		.amdhsa_system_sgpr_workgroup_id_y 0
		.amdhsa_system_sgpr_workgroup_id_z 0
		.amdhsa_system_sgpr_workgroup_info 0
		.amdhsa_system_vgpr_workitem_id 0
		.amdhsa_next_free_vgpr 204
		.amdhsa_next_free_sgpr 20
		.amdhsa_reserve_vcc 1
		.amdhsa_reserve_flat_scratch 0
		.amdhsa_float_round_mode_32 0
		.amdhsa_float_round_mode_16_64 0
		.amdhsa_float_denorm_mode_32 3
		.amdhsa_float_denorm_mode_16_64 3
		.amdhsa_dx10_clamp 1
		.amdhsa_ieee_mode 1
		.amdhsa_fp16_overflow 0
		.amdhsa_exception_fp_ieee_invalid_op 0
		.amdhsa_exception_fp_denorm_src 0
		.amdhsa_exception_fp_ieee_div_zero 0
		.amdhsa_exception_fp_ieee_overflow 0
		.amdhsa_exception_fp_ieee_underflow 0
		.amdhsa_exception_fp_ieee_inexact 0
		.amdhsa_exception_int_div_zero 0
	.end_amdhsa_kernel
	.text
.Lfunc_end0:
	.size	bluestein_single_back_len78_dim1_sp_op_CI_CI, .Lfunc_end0-bluestein_single_back_len78_dim1_sp_op_CI_CI
                                        ; -- End function
	.section	.AMDGPU.csdata,"",@progbits
; Kernel info:
; codeLenInByte = 8792
; NumSgprs: 24
; NumVgprs: 204
; ScratchSize: 0
; MemoryBound: 0
; FloatMode: 240
; IeeeMode: 1
; LDSByteSize: 11856 bytes/workgroup (compile time only)
; SGPRBlocks: 2
; VGPRBlocks: 50
; NumSGPRsForWavesPerEU: 24
; NumVGPRsForWavesPerEU: 204
; Occupancy: 1
; WaveLimiterHint : 1
; COMPUTE_PGM_RSRC2:SCRATCH_EN: 0
; COMPUTE_PGM_RSRC2:USER_SGPR: 6
; COMPUTE_PGM_RSRC2:TRAP_HANDLER: 0
; COMPUTE_PGM_RSRC2:TGID_X_EN: 1
; COMPUTE_PGM_RSRC2:TGID_Y_EN: 0
; COMPUTE_PGM_RSRC2:TGID_Z_EN: 0
; COMPUTE_PGM_RSRC2:TIDIG_COMP_CNT: 0
	.type	__hip_cuid_87b9788f36aa612c,@object ; @__hip_cuid_87b9788f36aa612c
	.section	.bss,"aw",@nobits
	.globl	__hip_cuid_87b9788f36aa612c
__hip_cuid_87b9788f36aa612c:
	.byte	0                               ; 0x0
	.size	__hip_cuid_87b9788f36aa612c, 1

	.ident	"AMD clang version 19.0.0git (https://github.com/RadeonOpenCompute/llvm-project roc-6.4.0 25133 c7fe45cf4b819c5991fe208aaa96edf142730f1d)"
	.section	".note.GNU-stack","",@progbits
	.addrsig
	.addrsig_sym __hip_cuid_87b9788f36aa612c
	.amdgpu_metadata
---
amdhsa.kernels:
  - .args:
      - .actual_access:  read_only
        .address_space:  global
        .offset:         0
        .size:           8
        .value_kind:     global_buffer
      - .actual_access:  read_only
        .address_space:  global
        .offset:         8
        .size:           8
        .value_kind:     global_buffer
      - .actual_access:  read_only
        .address_space:  global
        .offset:         16
        .size:           8
        .value_kind:     global_buffer
      - .actual_access:  read_only
        .address_space:  global
        .offset:         24
        .size:           8
        .value_kind:     global_buffer
      - .actual_access:  read_only
        .address_space:  global
        .offset:         32
        .size:           8
        .value_kind:     global_buffer
      - .offset:         40
        .size:           8
        .value_kind:     by_value
      - .address_space:  global
        .offset:         48
        .size:           8
        .value_kind:     global_buffer
      - .address_space:  global
        .offset:         56
        .size:           8
        .value_kind:     global_buffer
      - .address_space:  global
        .offset:         64
        .size:           8
        .value_kind:     global_buffer
      - .address_space:  global
        .offset:         72
        .size:           8
        .value_kind:     global_buffer
      - .offset:         80
        .size:           4
        .value_kind:     by_value
      - .address_space:  global
        .offset:         88
        .size:           8
        .value_kind:     global_buffer
      - .address_space:  global
        .offset:         96
        .size:           8
        .value_kind:     global_buffer
    .group_segment_fixed_size: 11856
    .kernarg_segment_align: 8
    .kernarg_segment_size: 104
    .language:       OpenCL C
    .language_version:
      - 2
      - 0
    .max_flat_workgroup_size: 247
    .name:           bluestein_single_back_len78_dim1_sp_op_CI_CI
    .private_segment_fixed_size: 0
    .sgpr_count:     24
    .sgpr_spill_count: 0
    .symbol:         bluestein_single_back_len78_dim1_sp_op_CI_CI.kd
    .uniform_work_group_size: 1
    .uses_dynamic_stack: false
    .vgpr_count:     204
    .vgpr_spill_count: 0
    .wavefront_size: 64
amdhsa.target:   amdgcn-amd-amdhsa--gfx906
amdhsa.version:
  - 1
  - 2
...

	.end_amdgpu_metadata
